;; amdgpu-corpus repo=ROCm/rocFFT kind=compiled arch=gfx950 opt=O3
	.text
	.amdgcn_target "amdgcn-amd-amdhsa--gfx950"
	.amdhsa_code_object_version 6
	.protected	fft_rtc_back_len17_factors_17_wgs_120_tpt_1_dp_op_CI_CI_sbrc_z_xy_unaligned_dirReg ; -- Begin function fft_rtc_back_len17_factors_17_wgs_120_tpt_1_dp_op_CI_CI_sbrc_z_xy_unaligned_dirReg
	.globl	fft_rtc_back_len17_factors_17_wgs_120_tpt_1_dp_op_CI_CI_sbrc_z_xy_unaligned_dirReg
	.p2align	8
	.type	fft_rtc_back_len17_factors_17_wgs_120_tpt_1_dp_op_CI_CI_sbrc_z_xy_unaligned_dirReg,@function
fft_rtc_back_len17_factors_17_wgs_120_tpt_1_dp_op_CI_CI_sbrc_z_xy_unaligned_dirReg: ; @fft_rtc_back_len17_factors_17_wgs_120_tpt_1_dp_op_CI_CI_sbrc_z_xy_unaligned_dirReg
; %bb.0:
	s_load_dwordx8 s[4:11], s[0:1], 0x8
	s_waitcnt lgkmcnt(0)
	s_load_dwordx4 s[12:15], s[6:7], 0x8
	s_load_dwordx4 s[16:19], s[8:9], 0x0
	s_waitcnt lgkmcnt(0)
	s_add_i32 s3, s12, -1
	s_mul_hi_u32 s3, s3, 0x88888889
	s_lshr_b32 s3, s3, 6
	s_add_i32 s6, s3, 1
	s_mul_i32 s7, s6, s14
	s_load_dword s14, s[8:9], 0x10
	v_cvt_f32_u32_e32 v2, s7
	v_cvt_f32_u32_e32 v1, s6
	s_sub_i32 s13, 0, s7
	v_rcp_iflag_f32_e32 v2, v2
	v_rcp_iflag_f32_e32 v1, v1
	v_mul_f32_e32 v2, 0x4f7ffffe, v2
	v_cvt_u32_f32_e32 v2, v2
	v_mul_f32_e32 v1, 0x4f7ffffe, v1
	v_cvt_u32_f32_e32 v1, v1
	v_readfirstlane_b32 s19, v2
	s_mul_i32 s13, s13, s19
	s_mul_hi_u32 s13, s19, s13
	s_add_i32 s19, s19, s13
	s_mul_hi_u32 s13, s2, s19
	s_mul_i32 s19, s13, s7
	s_sub_i32 s19, s2, s19
	s_add_i32 s20, s13, 1
	s_sub_i32 s21, s19, s7
	s_cmp_ge_u32 s19, s7
	s_cselect_b32 s13, s20, s13
	s_cselect_b32 s19, s21, s19
	s_add_i32 s20, s13, 1
	s_cmp_ge_u32 s19, s7
	v_readfirstlane_b32 s15, v1
	s_cselect_b32 s13, s20, s13
	s_not_b32 s3, s3
	s_mul_i32 s3, s3, s15
	s_mul_i32 s7, s13, s7
	s_mul_hi_u32 s3, s15, s3
	s_sub_i32 s7, s2, s7
	s_add_i32 s15, s15, s3
	s_mul_hi_u32 s3, s7, s15
	s_mul_i32 s19, s3, s6
	s_sub_i32 s7, s7, s19
	s_add_i32 s20, s3, 1
	s_sub_i32 s19, s7, s6
	s_cmp_ge_u32 s7, s6
	s_cselect_b32 s3, s20, s3
	s_cselect_b32 s7, s19, s7
	s_add_i32 s19, s3, 1
	s_cmp_ge_u32 s7, s6
	s_cselect_b32 s19, s19, s3
	s_mul_hi_u32 s3, s2, s15
	s_mul_i32 s3, s3, s6
	s_sub_i32 s2, s2, s3
	s_sub_i32 s3, s2, s6
	s_cmp_ge_u32 s2, s6
	s_cselect_b32 s2, s3, s2
	s_sub_i32 s3, s2, s6
	s_cmp_ge_u32 s2, s6
	s_cselect_b32 s26, s3, s2
	s_mulk_i32 s26, 0x78
	s_waitcnt lgkmcnt(0)
	s_mul_i32 s2, s19, s14
	s_mul_i32 s3, s26, s18
	s_add_i32 s20, s3, s2
	s_lshl_b64 s[4:5], s[4:5], 3
	s_add_u32 s6, s8, s4
	s_addc_u32 s7, s9, s5
	s_load_dwordx2 s[8:9], s[6:7], 0x0
	s_load_dwordx2 s[14:15], s[0:1], 0x58
	;; [unrolled: 1-line block ×3, first 2 shown]
	s_waitcnt lgkmcnt(0)
	s_movk_i32 s3, 0x78
	s_mul_i32 s6, s9, s13
	s_mul_hi_u32 s7, s8, s13
	s_add_i32 s7, s7, s6
	s_mul_i32 s6, s8, s13
	s_add_u32 s20, s6, s20
	s_addc_u32 s21, s7, 0
	s_add_u32 s22, s10, s4
	s_addc_u32 s23, s11, s5
	s_load_dwordx4 s[4:7], s[10:11], 0x0
	s_load_dwordx2 s[8:9], s[22:23], 0x0
	s_waitcnt lgkmcnt(0)
	s_add_i32 s7, s26, 0x78
	s_cmp_le_u32 s7, s12
	s_cselect_b64 s[10:11], -1, 0
	s_mov_b64 s[22:23], -1
	s_and_b64 vcc, exec, s[10:11]
	s_cbranch_vccnz .LBB0_4
; %bb.1:
	s_lshl_b64 s[22:23], s[20:21], 4
	s_add_u32 s22, s14, s22
	s_addc_u32 s23, s15, s23
	s_mov_b64 s[24:25], 0
	s_mov_b32 s7, 0xf0f1
	v_mov_b32_e32 v3, 0
	s_movk_i32 s27, 0x7f7
	v_mov_b32_e32 v1, v0
.LBB0_2:                                ; =>This Inner Loop Header: Depth=1
	v_mul_u32_u24_sdwa v2, v1, s7 dst_sel:DWORD dst_unused:UNUSED_PAD src0_sel:WORD_0 src1_sel:DWORD
	v_lshrrev_b32_e32 v8, 20, v2
	v_mul_lo_u16_e32 v4, 17, v8
	v_sub_u16_e32 v9, v1, v4
	v_mad_u64_u32 v[4:5], s[28:29], s16, v9, 0
	v_mov_b32_e32 v6, v5
	v_mad_u64_u32 v[6:7], s[28:29], s17, v9, v[6:7]
	v_mov_b32_e32 v5, v6
	v_mul_lo_u32 v2, s18, v8
	v_lshl_add_u64 v[4:5], v[4:5], 4, s[22:23]
	v_lshl_add_u64 v[4:5], v[2:3], 4, v[4:5]
	global_load_dwordx4 v[4:7], v[4:5], off
	v_add_u32_e32 v1, 0x78, v1
	v_mad_legacy_u16 v2, v9, s3, v8
	v_cmp_lt_u32_e32 vcc, s27, v1
	v_lshl_add_u32 v2, v2, 4, 0
	s_or_b64 s[24:25], vcc, s[24:25]
	s_waitcnt vmcnt(0)
	ds_write_b128 v2, v[4:7]
	s_andn2_b64 exec, exec, s[24:25]
	s_cbranch_execnz .LBB0_2
; %bb.3:
	s_or_b64 exec, exec, s[24:25]
	s_mov_b64 s[22:23], 0
.LBB0_4:
	s_and_b64 vcc, exec, s[22:23]
	s_cbranch_vccz .LBB0_6
; %bb.5:
	s_movk_i32 s3, 0xf10
	v_mul_u32_u24_sdwa v1, v0, s3 dst_sel:DWORD dst_unused:UNUSED_PAD src0_sel:WORD_0 src1_sel:DWORD
	v_lshrrev_b32_e32 v1, 16, v1
	v_mul_lo_u16_e32 v2, 17, v1
	v_sub_u16_e32 v72, v0, v2
	v_mad_u64_u32 v[2:3], s[22:23], s16, v72, 0
	v_mov_b32_e32 v4, v3
	s_lshl_b64 s[20:21], s[20:21], 4
	v_mad_u64_u32 v[4:5], s[22:23], s17, v72, v[4:5]
	s_add_u32 s14, s14, s20
	v_mov_b32_e32 v3, v4
	s_addc_u32 s15, s15, s21
	v_mul_lo_u32 v26, s18, v1
	v_mov_b32_e32 v27, 0
	v_lshl_add_u64 v[2:3], v[2:3], 4, s[14:15]
	v_lshl_add_u64 v[10:11], v[26:27], 4, v[2:3]
	v_add_u16_e32 v2, 0x78, v0
	v_mul_u32_u24_e32 v3, 0xf10, v2
	v_lshrrev_b32_e32 v73, 16, v3
	v_mul_lo_u16_e32 v3, 17, v73
	v_sub_u16_e32 v74, v2, v3
	v_mad_u64_u32 v[2:3], s[20:21], s16, v74, 0
	v_mov_b32_e32 v4, v3
	v_mad_u64_u32 v[4:5], s[20:21], s17, v74, v[4:5]
	v_mov_b32_e32 v3, v4
	v_mul_lo_u32 v26, s18, v73
	v_lshl_add_u64 v[2:3], v[2:3], 4, s[14:15]
	s_mov_b32 s7, 0x16800f0
	v_lshl_add_u64 v[12:13], v[26:27], 4, v[2:3]
	global_load_dwordx4 v[6:9], v[10:11], off
	global_load_dwordx4 v[2:5], v[12:13], off
	v_pk_add_u16 v10, v0, s7 op_sel_hi:[0,1]
	v_and_b32_e32 v11, 0x1ff, v10
	v_mul_u32_u24_e32 v11, 0xf10, v11
	v_mul_u32_u24_sdwa v12, v10, s3 dst_sel:DWORD dst_unused:UNUSED_PAD src0_sel:WORD_1 src1_sel:DWORD
	s_mov_b32 s7, 0x7060302
	v_perm_b32 v75, v12, v11, s7
	v_lshrrev_b32_e32 v14, 16, v11
	v_pk_mul_lo_u16 v11, v75, 17 op_sel_hi:[1,0]
	v_lshrrev_b32_e32 v15, 16, v12
	v_pk_sub_i16 v76, v10, v11
	v_mul_lo_u32 v26, s18, v14
	v_and_b32_e32 v13, 0xffff, v76
	v_mad_u64_u32 v[10:11], s[20:21], s16, v13, 0
	v_mov_b32_e32 v12, v11
	v_mad_u64_u32 v[12:13], s[20:21], s17, v13, v[12:13]
	v_mov_b32_e32 v11, v12
	v_lshl_add_u64 v[10:11], v[10:11], 4, s[14:15]
	v_lshrrev_b32_e32 v13, 16, v76
	v_lshl_add_u64 v[18:19], v[26:27], 4, v[10:11]
	v_mad_u64_u32 v[10:11], s[20:21], s16, v13, 0
	v_mov_b32_e32 v12, v11
	v_mad_u64_u32 v[12:13], s[20:21], s17, v13, v[12:13]
	v_mov_b32_e32 v11, v12
	v_mul_lo_u32 v26, s18, v15
	v_lshl_add_u64 v[10:11], v[10:11], 4, s[14:15]
	s_mov_b32 s20, 0x25801e0
	v_lshl_add_u64 v[20:21], v[26:27], 4, v[10:11]
	global_load_dwordx4 v[14:17], v[18:19], off
	global_load_dwordx4 v[10:13], v[20:21], off
	v_pk_add_u16 v18, v0, s20 op_sel_hi:[0,1]
	v_and_b32_e32 v19, 0x3ff, v18
	v_mul_u32_u24_e32 v19, 0xf10, v19
	v_mul_u32_u24_sdwa v20, v18, s3 dst_sel:DWORD dst_unused:UNUSED_PAD src0_sel:WORD_1 src1_sel:DWORD
	v_perm_b32 v77, v20, v19, s7
	v_lshrrev_b32_e32 v22, 16, v19
	v_pk_mul_lo_u16 v19, v77, 17 op_sel_hi:[1,0]
	v_lshrrev_b32_e32 v23, 16, v20
	v_pk_sub_i16 v78, v18, v19
	v_mul_lo_u32 v26, s18, v22
	v_and_b32_e32 v21, 0xffff, v78
	v_mad_u64_u32 v[18:19], s[20:21], s16, v21, 0
	v_mov_b32_e32 v20, v19
	v_mad_u64_u32 v[20:21], s[20:21], s17, v21, v[20:21]
	v_mov_b32_e32 v19, v20
	v_lshl_add_u64 v[18:19], v[18:19], 4, s[14:15]
	v_lshrrev_b32_e32 v21, 16, v78
	v_lshl_add_u64 v[28:29], v[26:27], 4, v[18:19]
	v_mad_u64_u32 v[18:19], s[20:21], s16, v21, 0
	v_mov_b32_e32 v20, v19
	v_mad_u64_u32 v[20:21], s[20:21], s17, v21, v[20:21]
	v_mov_b32_e32 v19, v20
	v_mul_lo_u32 v26, s18, v23
	v_lshl_add_u64 v[18:19], v[18:19], 4, s[14:15]
	s_mov_b32 s20, 0x34802d0
	v_lshl_add_u64 v[30:31], v[26:27], 4, v[18:19]
	v_pk_add_u16 v26, v0, s20 op_sel_hi:[0,1]
	global_load_dwordx4 v[22:25], v[28:29], off
	global_load_dwordx4 v[18:21], v[30:31], off
	v_and_b32_e32 v28, 0x3ff, v26
	v_mul_u32_u24_e32 v28, 0xf10, v28
	v_mul_u32_u24_sdwa v29, v26, s3 dst_sel:DWORD dst_unused:UNUSED_PAD src0_sel:WORD_1 src1_sel:DWORD
	v_perm_b32 v79, v29, v28, s7
	v_lshrrev_b32_e32 v32, 16, v28
	v_pk_mul_lo_u16 v28, v79, 17 op_sel_hi:[1,0]
	v_lshrrev_b32_e32 v33, 16, v29
	v_pk_sub_i16 v80, v26, v28
	s_nop 0
	v_and_b32_e32 v30, 0xffff, v80
	v_mad_u64_u32 v[28:29], s[20:21], s16, v30, 0
	v_mov_b32_e32 v26, v29
	v_mad_u64_u32 v[30:31], s[20:21], s17, v30, v[26:27]
	v_mov_b32_e32 v29, v30
	v_mul_lo_u32 v26, s18, v32
	v_lshl_add_u64 v[28:29], v[28:29], 4, s[14:15]
	v_lshrrev_b32_e32 v30, 16, v80
	v_lshl_add_u64 v[36:37], v[26:27], 4, v[28:29]
	v_mad_u64_u32 v[28:29], s[20:21], s16, v30, 0
	v_mov_b32_e32 v26, v29
	v_mad_u64_u32 v[30:31], s[20:21], s17, v30, v[26:27]
	v_mov_b32_e32 v29, v30
	v_mul_lo_u32 v26, s18, v33
	v_lshl_add_u64 v[28:29], v[28:29], 4, s[14:15]
	s_mov_b32 s20, 0x43803c0
	v_lshl_add_u64 v[38:39], v[26:27], 4, v[28:29]
	v_pk_add_u16 v26, v0, s20 op_sel_hi:[0,1]
	global_load_dwordx4 v[28:31], v[36:37], off
	global_load_dwordx4 v[32:35], v[38:39], off
	v_and_b32_e32 v36, 0x7ff, v26
	v_mul_u32_u24_e32 v36, 0xf10, v36
	v_mul_u32_u24_sdwa v37, v26, s3 dst_sel:DWORD dst_unused:UNUSED_PAD src0_sel:WORD_1 src1_sel:DWORD
	v_perm_b32 v81, v37, v36, s7
	v_lshrrev_b32_e32 v40, 16, v36
	v_pk_mul_lo_u16 v36, v81, 17 op_sel_hi:[1,0]
	v_lshrrev_b32_e32 v41, 16, v37
	v_pk_sub_i16 v82, v26, v36
	s_nop 0
	v_and_b32_e32 v38, 0xffff, v82
	v_mad_u64_u32 v[36:37], s[20:21], s16, v38, 0
	v_mov_b32_e32 v26, v37
	v_mad_u64_u32 v[38:39], s[20:21], s17, v38, v[26:27]
	v_mov_b32_e32 v37, v38
	v_mul_lo_u32 v26, s18, v40
	;; [unrolled: 29-line block ×5, first 2 shown]
	v_lshl_add_u64 v[60:61], v[60:61], 4, s[14:15]
	v_lshrrev_b32_e32 v62, 16, v88
	v_lshl_add_u64 v[68:69], v[26:27], 4, v[60:61]
	v_mad_u64_u32 v[60:61], s[20:21], s16, v62, 0
	v_mov_b32_e32 v26, v61
	v_mad_u64_u32 v[62:63], s[20:21], s17, v62, v[26:27]
	v_mov_b32_e32 v61, v62
	v_mul_lo_u32 v26, s18, v65
	v_lshl_add_u64 v[60:61], v[60:61], 4, s[14:15]
	v_lshl_add_u64 v[70:71], v[26:27], 4, v[60:61]
	v_or_b32_e32 v26, 0x780, v0
	global_load_dwordx4 v[60:63], v[68:69], off
	global_load_dwordx4 v[64:67], v[70:71], off
	v_mul_u32_u24_sdwa v68, v26, s3 dst_sel:DWORD dst_unused:UNUSED_PAD src0_sel:WORD_0 src1_sel:DWORD
	v_lshrrev_b32_e32 v89, 16, v68
	v_mul_lo_u16_e32 v68, 17, v89
	v_sub_u16_e32 v90, v26, v68
	v_mad_u64_u32 v[68:69], s[20:21], s16, v90, 0
	v_mov_b32_e32 v26, v69
	v_mad_u64_u32 v[70:71], s[16:17], s17, v90, v[26:27]
	v_mov_b32_e32 v69, v70
	v_mul_lo_u32 v26, s18, v89
	v_lshl_add_u64 v[68:69], v[68:69], 4, s[14:15]
	v_lshl_add_u64 v[26:27], v[26:27], 4, v[68:69]
	global_load_dwordx4 v[68:71], v[26:27], off
	v_mul_lo_u16_e32 v26, 0x78, v72
	v_or_b32_e32 v1, v26, v1
	v_and_b32_e32 v1, 0xffff, v1
	s_movk_i32 s3, 0x78
	v_lshl_add_u32 v1, v1, 4, 0
	s_waitcnt vmcnt(16)
	ds_write_b128 v1, v[6:9]
	v_mad_legacy_u16 v1, v74, s3, v73
	v_lshl_add_u32 v1, v1, 4, 0
	s_waitcnt vmcnt(15)
	ds_write_b128 v1, v[2:5]
	v_pk_mad_u16 v1, v76, s3, v75 op_sel_hi:[1,0,1]
	s_nop 0
	v_and_b32_e32 v2, 0xffff, v1
	v_bfe_u32 v1, v1, 16, 16
	v_lshl_add_u32 v2, v2, 4, 0
	v_lshl_add_u32 v1, v1, 4, 0
	s_waitcnt vmcnt(14)
	ds_write_b128 v2, v[14:17]
	s_waitcnt vmcnt(13)
	ds_write_b128 v1, v[10:13]
	v_pk_mad_u16 v1, v78, s3, v77 op_sel_hi:[1,0,1]
	s_nop 0
	v_and_b32_e32 v2, 0xffff, v1
	v_bfe_u32 v1, v1, 16, 16
	v_lshl_add_u32 v2, v2, 4, 0
	v_lshl_add_u32 v1, v1, 4, 0
	s_waitcnt vmcnt(12)
	ds_write_b128 v2, v[22:25]
	;; [unrolled: 10-line block ×7, first 2 shown]
	s_waitcnt vmcnt(1)
	ds_write_b128 v1, v[64:67]
	v_mad_legacy_u16 v1, v90, s3, v89
	v_lshl_add_u32 v1, v1, 4, 0
	s_waitcnt vmcnt(0)
	ds_write_b128 v1, v[68:71]
.LBB0_6:
	s_movk_i32 s3, 0x223
	v_mul_u32_u24_sdwa v1, v0, s3 dst_sel:DWORD dst_unused:UNUSED_PAD src0_sel:WORD_0 src1_sel:DWORD
	s_movk_i32 s3, 0x78
	v_mul_lo_u16_sdwa v1, v1, s3 dst_sel:DWORD dst_unused:UNUSED_PAD src0_sel:WORD_1 src1_sel:DWORD
	v_sub_u16_e32 v70, v0, v1
	v_add_u32_e32 v1, s26, v70
	v_cmp_gt_u32_e32 vcc, s12, v1
	s_or_b64 s[10:11], s[10:11], vcc
	s_waitcnt lgkmcnt(0)
	s_barrier
	s_and_saveexec_b64 s[14:15], s[10:11]
	s_cbranch_execz .LBB0_8
; %bb.7:
	s_mov_b32 s3, 0x2222223
	v_mul_hi_u32 v71, v0, s3
	v_mul_u32_u24_e32 v0, 0x780, v71
	v_lshlrev_b32_e32 v1, 4, v70
	v_add3_u32 v56, 0, v0, v1
	ds_read_b128 v[4:7], v56 offset:15360
	ds_read_b128 v[8:11], v56 offset:17280
	ds_read_b128 v[12:15], v56 offset:13440
	ds_read_b128 v[16:19], v56 offset:11520
	ds_read_b128 v[20:23], v56 offset:5760
	ds_read_b128 v[24:27], v56 offset:3840
	ds_read_b128 v[0:3], v56
	ds_read_b128 v[28:31], v56 offset:1920
	ds_read_b128 v[36:39], v56 offset:9600
	;; [unrolled: 1-line block ×4, first 2 shown]
	s_load_dwordx2 s[0:1], s[0:1], 0x60
	s_waitcnt lgkmcnt(0)
	v_add_f64 v[48:49], v[2:3], v[30:31]
	v_add_f64 v[48:49], v[48:49], v[26:27]
	;; [unrolled: 1-line block ×8, first 2 shown]
	v_add_f64 v[46:47], v[6:7], -v[10:11]
	v_add_f64 v[48:49], v[48:49], v[6:7]
	v_add_f64 v[6:7], v[0:1], v[28:29]
	;; [unrolled: 1-line block ×9, first 2 shown]
	v_add_f64 v[42:43], v[4:5], -v[8:9]
	v_add_f64 v[44:45], v[4:5], v[8:9]
	ds_read_b128 v[4:7], v56 offset:21120
	v_add_f64 v[10:11], v[48:49], v[10:11]
	v_add_f64 v[8:9], v[54:55], v[8:9]
	v_add_f64 v[80:81], v[12:13], -v[50:51]
	v_add_f64 v[48:49], v[14:15], v[52:53]
	v_add_f64 v[58:59], v[12:13], v[50:51]
	v_add_f64 v[66:67], v[14:15], -v[52:53]
	v_add_f64 v[12:13], v[10:11], v[52:53]
	v_add_f64 v[14:15], v[8:9], v[50:51]
	ds_read_b128 v[8:11], v56 offset:23040
	s_waitcnt lgkmcnt(1)
	v_add_f64 v[88:89], v[16:17], -v[4:5]
	v_add_f64 v[50:51], v[18:19], v[6:7]
	v_add_f64 v[60:61], v[16:17], v[4:5]
	v_add_f64 v[72:73], v[18:19], -v[6:7]
	v_add_f64 v[12:13], v[12:13], v[6:7]
	v_add_f64 v[14:15], v[14:15], v[4:5]
	ds_read_b128 v[4:7], v56 offset:24960
	s_waitcnt lgkmcnt(1)
	;; [unrolled: 8-line block ×5, first 2 shown]
	v_add_f64 v[126:127], v[24:25], -v[4:5]
	v_add_f64 v[76:77], v[24:25], v[4:5]
	v_add_f64 v[4:5], v[14:15], v[4:5]
	;; [unrolled: 1-line block ×3, first 2 shown]
	v_add_f64 v[120:121], v[26:27], -v[6:7]
	v_add_f64 v[6:7], v[12:13], v[6:7]
	s_waitcnt lgkmcnt(0)
	v_add_f64 v[130:131], v[28:29], -v[8:9]
	v_add_f64 v[82:83], v[28:29], v[8:9]
	v_add_f64 v[4:5], v[4:5], v[8:9]
	v_mad_u64_u32 v[8:9], s[10:11], s4, v70, 0
	v_add_f64 v[56:57], v[30:31], v[10:11]
	v_add_f64 v[124:125], v[30:31], -v[10:11]
	v_add_f64 v[6:7], v[6:7], v[10:11]
	v_mov_b32_e32 v10, v9
	v_mad_u64_u32 v[10:11], s[10:11], s5, v70, v[10:11]
	s_mul_i32 s3, s5, s26
	s_mul_hi_u32 s5, s4, s26
	s_add_i32 s5, s5, s3
	s_mul_i32 s4, s4, s26
	s_mul_i32 s3, s9, s13
	s_mul_hi_u32 s9, s8, s13
	s_add_i32 s9, s9, s3
	s_lshl_b64 s[4:5], s[4:5], 4
	s_mul_i32 s6, s19, s6
	s_mov_b32 s7, 0
	s_add_u32 s3, s0, s4
	s_addc_u32 s4, s1, s5
	s_lshl_b64 s[0:1], s[6:7], 4
	s_mul_i32 s8, s8, s13
	s_add_u32 s3, s3, s0
	s_addc_u32 s4, s4, s1
	s_lshl_b64 s[0:1], s[8:9], 4
	s_add_u32 s0, s3, s0
	v_mov_b32_e32 v9, v10
	v_mul_u32_u24_e32 v10, 17, v71
	s_addc_u32 s1, s4, s1
	s_mov_b32 s20, 0x5d8e7cdc
	v_mul_lo_u32 v32, v10, s2
	v_mov_b32_e32 v33, 0
	v_lshl_add_u64 v[34:35], v[8:9], 4, s[0:1]
	s_mov_b32 s18, 0x2a9d6da3
	s_mov_b32 s21, 0x3fd71e95
	;; [unrolled: 1-line block ×5, first 2 shown]
	v_lshl_add_u64 v[8:9], v[32:33], 4, v[34:35]
	s_mov_b32 s19, 0x3fe58eea
	s_mov_b32 s0, 0x75d4884
	;; [unrolled: 1-line block ×5, first 2 shown]
	v_mul_f64 v[74:75], v[130:131], s[28:29]
	s_mov_b32 s42, 0x7c9e640b
	global_store_dwordx4 v[8:9], v[4:7], off
	s_mov_b32 s1, 0x3fe7a5f6
	v_mul_f64 v[70:71], v[126:127], s[44:45]
	v_fma_f64 v[4:5], v[56:57], s[4:5], -v[74:75]
	s_mov_b32 s43, 0x3feca52d
	s_mov_b32 s6, 0x2b2883cd
	;; [unrolled: 1-line block ×5, first 2 shown]
	v_add_f64 v[4:5], v[2:3], v[4:5]
	v_fma_f64 v[6:7], v[54:55], s[0:1], -v[70:71]
	s_mov_b32 s7, 0x3fdc86fa
	v_mul_f64 v[78:79], v[122:123], s[22:23]
	s_mov_b32 s35, 0x3fefdd0d
	s_mov_b32 s8, 0x3259b75e
	;; [unrolled: 1-line block ×5, first 2 shown]
	v_add_f64 v[4:5], v[6:7], v[4:5]
	v_fma_f64 v[6:7], v[38:39], s[6:7], -v[78:79]
	s_mov_b32 s9, 0x3fb79ee6
	v_mul_f64 v[86:87], v[110:111], s[24:25]
	s_mov_b32 s41, 0xbfeec746
	s_mov_b32 s10, 0xc61f0d01
	;; [unrolled: 1-line block ×3, first 2 shown]
	v_add_f64 v[4:5], v[6:7], v[4:5]
	v_fma_f64 v[6:7], v[36:37], s[8:9], -v[86:87]
	s_mov_b32 s11, 0xbfd183b1
	v_mul_f64 v[90:91], v[98:99], s[40:41]
	s_mov_b32 s37, 0xbfe9895b
	s_mov_b32 s12, 0x6ed5f1bb
	;; [unrolled: 1-line block ×3, first 2 shown]
	v_add_f64 v[4:5], v[6:7], v[4:5]
	v_fma_f64 v[6:7], v[52:53], s[10:11], -v[90:91]
	s_mov_b32 s13, 0xbfe348c8
	v_mul_f64 v[96:97], v[88:89], s[36:37]
	s_mov_b32 s27, 0xbfe0d888
	s_mov_b32 s14, 0x910ea3b9
	v_add_f64 v[4:5], v[6:7], v[4:5]
	v_fma_f64 v[6:7], v[50:51], s[12:13], -v[96:97]
	s_mov_b32 s15, 0xbfeb34fa
	v_mul_f64 v[102:103], v[80:81], s[26:27]
	v_add_f64 v[4:5], v[6:7], v[4:5]
	v_fma_f64 v[6:7], v[48:49], s[14:15], -v[102:103]
	v_mul_f64 v[8:9], v[124:125], s[28:29]
	v_add_f64 v[4:5], v[6:7], v[4:5]
	v_mul_f64 v[6:7], v[120:121], s[44:45]
	v_fma_f64 v[114:115], v[82:83], s[4:5], -v[8:9]
	v_fmac_f64_e32 v[8:9], s[4:5], v[82:83]
	v_fma_f64 v[92:93], v[76:77], s[0:1], -v[6:7]
	v_fmac_f64_e32 v[6:7], s[0:1], v[76:77]
	v_add_f64 v[8:9], v[0:1], v[8:9]
	v_add_f64 v[6:7], v[6:7], v[8:9]
	v_mul_f64 v[8:9], v[106:107], s[22:23]
	v_fma_f64 v[100:101], v[68:69], s[6:7], -v[8:9]
	v_fmac_f64_e32 v[8:9], s[6:7], v[68:69]
	v_add_f64 v[6:7], v[8:9], v[6:7]
	v_mul_f64 v[8:9], v[94:95], s[24:25]
	v_fma_f64 v[104:105], v[64:65], s[8:9], -v[8:9]
	v_fmac_f64_e32 v[8:9], s[8:9], v[64:65]
	;; [unrolled: 4-line block ×4, first 2 shown]
	s_mov_b32 s30, 0xacd6c6b4
	v_add_f64 v[6:7], v[8:9], v[6:7]
	v_mul_f64 v[8:9], v[66:67], s[26:27]
	s_mov_b32 s31, 0xbfc7851a
	s_mov_b32 s16, 0x7faef3
	v_fma_f64 v[116:117], v[58:59], s[14:15], -v[8:9]
	v_fmac_f64_e32 v[8:9], s[14:15], v[58:59]
	s_mov_b32 s17, 0xbfef7484
	v_mul_f64 v[128:129], v[42:43], s[30:31]
	v_add_f64 v[8:9], v[8:9], v[6:7]
	v_fma_f64 v[6:7], v[40:41], s[16:17], -v[128:129]
	v_add_f64 v[6:7], v[6:7], v[4:5]
	v_mul_f64 v[4:5], v[46:47], s[30:31]
	v_fma_f64 v[118:119], v[44:45], s[16:17], -v[4:5]
	v_fmac_f64_e32 v[4:5], s[16:17], v[44:45]
	v_add_u32_e32 v32, s2, v32
	v_add_f64 v[4:5], v[4:5], v[8:9]
	v_lshl_add_u64 v[8:9], v[32:33], 4, v[34:35]
	v_mul_f64 v[132:133], v[130:131], s[44:45]
	global_store_dwordx4 v[8:9], v[4:7], off
	v_mul_f64 v[138:139], v[126:127], s[24:25]
	v_mul_f64 v[134:135], v[122:123], s[36:37]
	v_fma_f64 v[4:5], v[56:57], s[0:1], -v[132:133]
	v_add_f64 v[4:5], v[2:3], v[4:5]
	v_fma_f64 v[6:7], v[54:55], s[8:9], -v[138:139]
	v_add_f64 v[4:5], v[6:7], v[4:5]
	v_fma_f64 v[6:7], v[38:39], s[12:13], -v[134:135]
	v_mul_f64 v[136:137], v[110:111], s[30:31]
	s_mov_b32 s47, 0x3fe0d888
	s_mov_b32 s46, s26
	v_add_f64 v[4:5], v[6:7], v[4:5]
	v_fma_f64 v[6:7], v[36:37], s[16:17], -v[136:137]
	v_mul_f64 v[140:141], v[98:99], s[46:47]
	s_mov_b32 s39, 0x3feec746
	s_mov_b32 s38, s40
	v_add_f64 v[4:5], v[6:7], v[4:5]
	v_fma_f64 v[6:7], v[52:53], s[14:15], -v[140:141]
	v_mul_f64 v[142:143], v[88:89], s[38:39]
	v_add_f64 v[4:5], v[6:7], v[4:5]
	v_fma_f64 v[6:7], v[50:51], s[10:11], -v[142:143]
	v_mul_f64 v[144:145], v[80:81], s[42:43]
	;; [unrolled: 3-line block ×3, first 2 shown]
	v_add_f64 v[4:5], v[6:7], v[4:5]
	v_mul_f64 v[6:7], v[120:121], s[24:25]
	v_fma_f64 v[148:149], v[82:83], s[0:1], -v[8:9]
	v_fmac_f64_e32 v[8:9], s[0:1], v[82:83]
	v_fma_f64 v[146:147], v[76:77], s[8:9], -v[6:7]
	v_fmac_f64_e32 v[6:7], s[8:9], v[76:77]
	v_add_f64 v[8:9], v[0:1], v[8:9]
	v_add_f64 v[6:7], v[6:7], v[8:9]
	v_mul_f64 v[8:9], v[106:107], s[36:37]
	v_fma_f64 v[150:151], v[68:69], s[12:13], -v[8:9]
	v_fmac_f64_e32 v[8:9], s[12:13], v[68:69]
	v_add_f64 v[6:7], v[8:9], v[6:7]
	v_mul_f64 v[8:9], v[94:95], s[30:31]
	v_fma_f64 v[152:153], v[64:65], s[16:17], -v[8:9]
	v_fmac_f64_e32 v[8:9], s[16:17], v[64:65]
	;; [unrolled: 4-line block ×5, first 2 shown]
	v_mul_f64 v[160:161], v[42:43], s[20:21]
	v_add_f64 v[8:9], v[8:9], v[6:7]
	v_fma_f64 v[6:7], v[40:41], s[4:5], -v[160:161]
	v_add_f64 v[6:7], v[6:7], v[4:5]
	v_mul_f64 v[4:5], v[46:47], s[20:21]
	v_fma_f64 v[162:163], v[44:45], s[4:5], -v[4:5]
	v_fmac_f64_e32 v[4:5], s[4:5], v[44:45]
	v_add_u32_e32 v32, s2, v32
	v_add_f64 v[4:5], v[4:5], v[8:9]
	v_lshl_add_u64 v[8:9], v[32:33], 4, v[34:35]
	v_mul_f64 v[164:165], v[130:131], s[22:23]
	global_store_dwordx4 v[8:9], v[4:7], off
	v_mul_f64 v[166:167], v[126:127], s[36:37]
	s_mov_b32 s49, 0x3fc7851a
	v_fma_f64 v[4:5], v[56:57], s[6:7], -v[164:165]
	s_mov_b32 s48, s30
	v_add_f64 v[4:5], v[2:3], v[4:5]
	v_fma_f64 v[6:7], v[54:55], s[12:13], -v[166:167]
	v_mul_f64 v[168:169], v[122:123], s[48:49]
	v_add_f64 v[4:5], v[6:7], v[4:5]
	v_fma_f64 v[6:7], v[38:39], s[16:17], -v[168:169]
	v_mul_f64 v[170:171], v[110:111], s[38:39]
	;; [unrolled: 3-line block ×6, first 2 shown]
	v_add_f64 v[4:5], v[6:7], v[4:5]
	v_mul_f64 v[6:7], v[120:121], s[36:37]
	v_fma_f64 v[180:181], v[82:83], s[6:7], -v[8:9]
	v_fmac_f64_e32 v[8:9], s[6:7], v[82:83]
	v_fma_f64 v[178:179], v[76:77], s[12:13], -v[6:7]
	v_fmac_f64_e32 v[6:7], s[12:13], v[76:77]
	v_add_f64 v[8:9], v[0:1], v[8:9]
	v_add_f64 v[6:7], v[6:7], v[8:9]
	v_mul_f64 v[8:9], v[106:107], s[48:49]
	v_fma_f64 v[182:183], v[68:69], s[16:17], -v[8:9]
	v_fmac_f64_e32 v[8:9], s[16:17], v[68:69]
	v_add_f64 v[6:7], v[8:9], v[6:7]
	v_mul_f64 v[8:9], v[94:95], s[38:39]
	v_fma_f64 v[184:185], v[64:65], s[10:11], -v[8:9]
	v_fmac_f64_e32 v[8:9], s[10:11], v[64:65]
	;; [unrolled: 4-line block ×5, first 2 shown]
	v_mul_f64 v[192:193], v[42:43], s[26:27]
	v_add_f64 v[8:9], v[8:9], v[6:7]
	v_fma_f64 v[6:7], v[40:41], s[14:15], -v[192:193]
	v_add_f64 v[6:7], v[6:7], v[4:5]
	v_mul_f64 v[4:5], v[46:47], s[26:27]
	v_fma_f64 v[194:195], v[44:45], s[14:15], -v[4:5]
	v_fmac_f64_e32 v[4:5], s[14:15], v[44:45]
	v_add_u32_e32 v32, s2, v32
	v_add_f64 v[4:5], v[4:5], v[8:9]
	v_lshl_add_u64 v[8:9], v[32:33], 4, v[34:35]
	global_store_dwordx4 v[8:9], v[4:7], off
	v_mul_f64 v[8:9], v[130:131], s[30:31]
	v_mul_f64 v[10:11], v[126:127], s[20:21]
	v_fma_f64 v[4:5], s[16:17], v[56:57], v[8:9]
	v_add_f64 v[4:5], v[2:3], v[4:5]
	v_fma_f64 v[6:7], s[4:5], v[54:55], v[10:11]
	v_mul_f64 v[12:13], v[122:123], s[26:27]
	v_add_f64 v[4:5], v[6:7], v[4:5]
	v_fma_f64 v[6:7], s[14:15], v[38:39], v[12:13]
	v_mul_f64 v[14:15], v[110:111], s[18:19]
	;; [unrolled: 3-line block ×6, first 2 shown]
	v_add_f64 v[4:5], v[6:7], v[4:5]
	v_fma_f64 v[6:7], v[82:83], s[16:17], -v[22:23]
	v_mul_f64 v[24:25], v[120:121], s[20:21]
	v_fma_f64 v[8:9], v[56:57], s[16:17], -v[8:9]
	v_add_f64 v[6:7], v[0:1], v[6:7]
	v_fma_f64 v[26:27], v[76:77], s[4:5], -v[24:25]
	v_fma_f64 v[10:11], v[54:55], s[4:5], -v[10:11]
	v_add_f64 v[8:9], v[2:3], v[8:9]
	v_add_f64 v[6:7], v[26:27], v[6:7]
	v_mul_f64 v[26:27], v[106:107], s[26:27]
	v_add_f64 v[8:9], v[10:11], v[8:9]
	v_fma_f64 v[10:11], v[38:39], s[14:15], -v[12:13]
	v_fma_f64 v[28:29], v[68:69], s[14:15], -v[26:27]
	v_add_f64 v[8:9], v[10:11], v[8:9]
	v_fma_f64 v[10:11], v[36:37], s[0:1], -v[14:15]
	v_add_f64 v[6:7], v[28:29], v[6:7]
	v_mul_f64 v[28:29], v[94:95], s[18:19]
	v_add_f64 v[8:9], v[10:11], v[8:9]
	v_fma_f64 v[10:11], v[52:53], s[12:13], -v[16:17]
	v_fma_f64 v[30:31], v[64:65], s[0:1], -v[28:29]
	v_add_f64 v[8:9], v[10:11], v[8:9]
	v_fma_f64 v[10:11], v[50:51], s[6:7], -v[18:19]
	v_add_f64 v[6:7], v[30:31], v[6:7]
	v_mul_f64 v[30:31], v[84:85], s[36:37]
	v_add_f64 v[8:9], v[10:11], v[8:9]
	v_fma_f64 v[10:11], v[48:49], s[10:11], -v[20:21]
	v_fmac_f64_e32 v[22:23], s[16:17], v[82:83]
	v_fma_f64 v[196:197], v[62:63], s[12:13], -v[30:31]
	v_add_f64 v[8:9], v[10:11], v[8:9]
	v_fmac_f64_e32 v[24:25], s[4:5], v[76:77]
	v_add_f64 v[10:11], v[0:1], v[22:23]
	v_add_f64 v[6:7], v[196:197], v[6:7]
	v_mul_f64 v[196:197], v[72:73], s[42:43]
	v_add_f64 v[10:11], v[24:25], v[10:11]
	v_fmac_f64_e32 v[26:27], s[14:15], v[68:69]
	v_fma_f64 v[198:199], v[60:61], s[6:7], -v[196:197]
	v_add_f64 v[10:11], v[26:27], v[10:11]
	v_fmac_f64_e32 v[28:29], s[0:1], v[64:65]
	v_add_f64 v[6:7], v[198:199], v[6:7]
	v_mul_f64 v[198:199], v[66:67], s[40:41]
	v_add_f64 v[10:11], v[28:29], v[10:11]
	v_fmac_f64_e32 v[30:31], s[12:13], v[62:63]
	v_fma_f64 v[200:201], v[58:59], s[10:11], -v[198:199]
	v_mul_f64 v[202:203], v[42:43], s[34:35]
	v_add_f64 v[10:11], v[30:31], v[10:11]
	v_fmac_f64_e32 v[196:197], s[6:7], v[60:61]
	v_add_f64 v[200:201], v[200:201], v[6:7]
	v_fma_f64 v[6:7], s[8:9], v[40:41], v[202:203]
	v_mul_f64 v[204:205], v[46:47], s[34:35]
	v_add_f64 v[10:11], v[196:197], v[10:11]
	v_fmac_f64_e32 v[198:199], s[10:11], v[58:59]
	v_add_f64 v[6:7], v[6:7], v[4:5]
	v_fma_f64 v[4:5], v[44:45], s[8:9], -v[204:205]
	v_add_f64 v[12:13], v[198:199], v[10:11]
	v_fma_f64 v[10:11], v[40:41], s[8:9], -v[202:203]
	v_fmac_f64_e32 v[204:205], s[8:9], v[44:45]
	v_mul_f64 v[16:17], v[130:131], s[26:27]
	v_add_f64 v[10:11], v[10:11], v[8:9]
	v_add_f64 v[8:9], v[204:205], v[12:13]
	v_fma_f64 v[12:13], s[14:15], v[56:57], v[16:17]
	v_mul_f64 v[18:19], v[126:127], s[42:43]
	v_add_f64 v[12:13], v[2:3], v[12:13]
	v_fma_f64 v[14:15], s[6:7], v[54:55], v[18:19]
	v_mul_f64 v[20:21], v[122:123], s[24:25]
	s_mov_b32 s49, 0x3fe9895b
	s_mov_b32 s48, s36
	v_add_f64 v[12:13], v[14:15], v[12:13]
	v_fma_f64 v[14:15], s[8:9], v[38:39], v[20:21]
	v_mul_f64 v[22:23], v[110:111], s[48:49]
	v_add_f64 v[12:13], v[14:15], v[12:13]
	v_fma_f64 v[14:15], s[12:13], v[36:37], v[22:23]
	v_mul_f64 v[24:25], v[98:99], s[28:29]
	;; [unrolled: 3-line block ×5, first 2 shown]
	v_add_f64 v[12:13], v[14:15], v[12:13]
	v_fma_f64 v[14:15], v[82:83], s[14:15], -v[30:31]
	v_mul_f64 v[196:197], v[120:121], s[42:43]
	v_fma_f64 v[16:17], v[56:57], s[14:15], -v[16:17]
	v_add_f64 v[14:15], v[0:1], v[14:15]
	v_fma_f64 v[198:199], v[76:77], s[6:7], -v[196:197]
	v_fma_f64 v[18:19], v[54:55], s[6:7], -v[18:19]
	v_add_f64 v[16:17], v[2:3], v[16:17]
	v_add_f64 v[14:15], v[198:199], v[14:15]
	v_mul_f64 v[198:199], v[106:107], s[24:25]
	v_add_f64 v[16:17], v[18:19], v[16:17]
	v_fma_f64 v[18:19], v[38:39], s[8:9], -v[20:21]
	v_add_f64 v[4:5], v[4:5], v[200:201]
	v_fma_f64 v[200:201], v[68:69], s[8:9], -v[198:199]
	v_add_f64 v[16:17], v[18:19], v[16:17]
	v_fma_f64 v[18:19], v[36:37], s[12:13], -v[22:23]
	v_add_f64 v[14:15], v[200:201], v[14:15]
	v_mul_f64 v[200:201], v[94:95], s[48:49]
	v_add_f64 v[16:17], v[18:19], v[16:17]
	v_fma_f64 v[18:19], v[52:53], s[4:5], -v[24:25]
	v_fma_f64 v[202:203], v[64:65], s[12:13], -v[200:201]
	v_add_f64 v[16:17], v[18:19], v[16:17]
	v_fma_f64 v[18:19], v[50:51], s[16:17], -v[26:27]
	v_add_f64 v[14:15], v[202:203], v[14:15]
	v_mul_f64 v[202:203], v[84:85], s[28:29]
	v_add_f64 v[16:17], v[18:19], v[16:17]
	v_fma_f64 v[18:19], v[48:49], s[0:1], -v[28:29]
	v_fmac_f64_e32 v[30:31], s[14:15], v[82:83]
	v_fma_f64 v[204:205], v[62:63], s[4:5], -v[202:203]
	v_add_f64 v[16:17], v[18:19], v[16:17]
	v_fmac_f64_e32 v[196:197], s[6:7], v[76:77]
	v_add_f64 v[18:19], v[0:1], v[30:31]
	v_add_f64 v[14:15], v[204:205], v[14:15]
	v_mul_f64 v[204:205], v[72:73], s[30:31]
	v_add_f64 v[18:19], v[196:197], v[18:19]
	v_fmac_f64_e32 v[198:199], s[8:9], v[68:69]
	v_fma_f64 v[206:207], v[60:61], s[16:17], -v[204:205]
	v_add_f64 v[18:19], v[198:199], v[18:19]
	v_fmac_f64_e32 v[200:201], s[12:13], v[64:65]
	v_add_f64 v[14:15], v[206:207], v[14:15]
	v_mul_f64 v[206:207], v[66:67], s[18:19]
	v_add_f64 v[18:19], v[200:201], v[18:19]
	v_fmac_f64_e32 v[202:203], s[4:5], v[62:63]
	v_fma_f64 v[208:209], v[58:59], s[0:1], -v[206:207]
	v_mul_f64 v[210:211], v[42:43], s[40:41]
	v_add_f64 v[18:19], v[202:203], v[18:19]
	v_fmac_f64_e32 v[204:205], s[16:17], v[60:61]
	v_add_f64 v[208:209], v[208:209], v[14:15]
	v_fma_f64 v[14:15], s[10:11], v[40:41], v[210:211]
	v_mul_f64 v[212:213], v[46:47], s[40:41]
	v_add_f64 v[18:19], v[204:205], v[18:19]
	v_fmac_f64_e32 v[206:207], s[0:1], v[58:59]
	v_add_f64 v[14:15], v[14:15], v[12:13]
	v_fma_f64 v[12:13], v[44:45], s[10:11], -v[212:213]
	v_add_f64 v[20:21], v[206:207], v[18:19]
	v_fma_f64 v[18:19], v[40:41], s[10:11], -v[210:211]
	v_fmac_f64_e32 v[212:213], s[10:11], v[44:45]
	v_mul_f64 v[24:25], v[130:131], s[36:37]
	v_add_f64 v[18:19], v[18:19], v[16:17]
	v_add_f64 v[16:17], v[212:213], v[20:21]
	v_fma_f64 v[20:21], s[12:13], v[56:57], v[24:25]
	v_mul_f64 v[26:27], v[126:127], s[38:39]
	v_add_f64 v[20:21], v[2:3], v[20:21]
	v_fma_f64 v[22:23], s[10:11], v[54:55], v[26:27]
	v_mul_f64 v[28:29], v[122:123], s[28:29]
	;; [unrolled: 3-line block ×7, first 2 shown]
	v_add_f64 v[20:21], v[22:23], v[20:21]
	v_fma_f64 v[22:23], v[82:83], s[12:13], -v[202:203]
	v_mul_f64 v[204:205], v[120:121], s[38:39]
	v_fma_f64 v[24:25], v[56:57], s[12:13], -v[24:25]
	v_add_f64 v[22:23], v[0:1], v[22:23]
	v_fma_f64 v[206:207], v[76:77], s[10:11], -v[204:205]
	v_fma_f64 v[26:27], v[54:55], s[10:11], -v[26:27]
	v_add_f64 v[24:25], v[2:3], v[24:25]
	v_add_f64 v[22:23], v[206:207], v[22:23]
	v_mul_f64 v[206:207], v[106:107], s[28:29]
	v_add_f64 v[24:25], v[26:27], v[24:25]
	v_fma_f64 v[26:27], v[38:39], s[4:5], -v[28:29]
	v_add_f64 v[12:13], v[12:13], v[208:209]
	v_fma_f64 v[208:209], v[68:69], s[4:5], -v[206:207]
	;; [unrolled: 2-line block ×3, first 2 shown]
	v_add_f64 v[22:23], v[208:209], v[22:23]
	v_mul_f64 v[208:209], v[94:95], s[26:27]
	v_add_f64 v[24:25], v[26:27], v[24:25]
	v_fma_f64 v[26:27], v[52:53], s[8:9], -v[196:197]
	v_fma_f64 v[210:211], v[64:65], s[14:15], -v[208:209]
	v_add_f64 v[24:25], v[26:27], v[24:25]
	v_fma_f64 v[26:27], v[50:51], s[0:1], -v[198:199]
	v_add_f64 v[22:23], v[210:211], v[22:23]
	v_mul_f64 v[210:211], v[84:85], s[34:35]
	v_add_f64 v[24:25], v[26:27], v[24:25]
	v_fma_f64 v[26:27], v[48:49], s[16:17], -v[200:201]
	v_fmac_f64_e32 v[202:203], s[12:13], v[82:83]
	v_fma_f64 v[212:213], v[62:63], s[8:9], -v[210:211]
	v_add_f64 v[24:25], v[26:27], v[24:25]
	v_fmac_f64_e32 v[204:205], s[10:11], v[76:77]
	v_add_f64 v[26:27], v[0:1], v[202:203]
	v_add_f64 v[22:23], v[212:213], v[22:23]
	v_mul_f64 v[212:213], v[72:73], s[44:45]
	v_add_f64 v[26:27], v[204:205], v[26:27]
	v_fmac_f64_e32 v[206:207], s[4:5], v[68:69]
	v_fma_f64 v[214:215], v[60:61], s[0:1], -v[212:213]
	v_add_f64 v[26:27], v[206:207], v[26:27]
	v_fmac_f64_e32 v[208:209], s[14:15], v[64:65]
	v_add_f64 v[22:23], v[214:215], v[22:23]
	v_mul_f64 v[214:215], v[66:67], s[30:31]
	v_add_f64 v[26:27], v[208:209], v[26:27]
	v_fmac_f64_e32 v[210:211], s[8:9], v[62:63]
	v_fma_f64 v[216:217], v[58:59], s[16:17], -v[214:215]
	v_mul_f64 v[218:219], v[42:43], s[42:43]
	v_add_f64 v[26:27], v[210:211], v[26:27]
	v_fmac_f64_e32 v[212:213], s[0:1], v[60:61]
	v_add_f64 v[216:217], v[216:217], v[22:23]
	v_fma_f64 v[22:23], s[6:7], v[40:41], v[218:219]
	v_mul_f64 v[220:221], v[46:47], s[42:43]
	v_add_f64 v[26:27], v[212:213], v[26:27]
	v_fmac_f64_e32 v[214:215], s[16:17], v[58:59]
	v_fma_f64 v[28:29], v[40:41], s[6:7], -v[218:219]
	v_mul_f64 v[196:197], v[130:131], s[40:41]
	v_add_f64 v[22:23], v[22:23], v[20:21]
	v_fma_f64 v[20:21], v[44:45], s[6:7], -v[220:221]
	v_add_f64 v[26:27], v[214:215], v[26:27]
	v_add_f64 v[30:31], v[28:29], v[24:25]
	v_fmac_f64_e32 v[220:221], s[6:7], v[44:45]
	v_fma_f64 v[24:25], s[10:11], v[56:57], v[196:197]
	v_mul_f64 v[198:199], v[126:127], s[46:47]
	v_add_f64 v[28:29], v[220:221], v[26:27]
	v_add_f64 v[24:25], v[2:3], v[24:25]
	v_fma_f64 v[26:27], s[14:15], v[54:55], v[198:199]
	v_mul_f64 v[200:201], v[122:123], s[18:19]
	v_add_f64 v[24:25], v[26:27], v[24:25]
	v_fma_f64 v[26:27], s[0:1], v[38:39], v[200:201]
	v_mul_f64 v[202:203], v[110:111], s[22:23]
	;; [unrolled: 3-line block ×6, first 2 shown]
	v_add_f64 v[24:25], v[26:27], v[24:25]
	v_fma_f64 v[26:27], v[82:83], s[10:11], -v[210:211]
	v_mul_f64 v[212:213], v[120:121], s[46:47]
	v_fma_f64 v[196:197], v[56:57], s[10:11], -v[196:197]
	v_add_f64 v[26:27], v[0:1], v[26:27]
	v_fma_f64 v[214:215], v[76:77], s[14:15], -v[212:213]
	v_fma_f64 v[198:199], v[54:55], s[14:15], -v[198:199]
	v_add_f64 v[196:197], v[2:3], v[196:197]
	v_add_f64 v[26:27], v[214:215], v[26:27]
	v_mul_f64 v[214:215], v[106:107], s[18:19]
	v_add_f64 v[196:197], v[198:199], v[196:197]
	v_fma_f64 v[198:199], v[38:39], s[0:1], -v[200:201]
	v_add_f64 v[20:21], v[20:21], v[216:217]
	v_fma_f64 v[216:217], v[68:69], s[0:1], -v[214:215]
	;; [unrolled: 2-line block ×3, first 2 shown]
	v_add_f64 v[26:27], v[216:217], v[26:27]
	v_mul_f64 v[216:217], v[94:95], s[22:23]
	v_add_f64 v[196:197], v[198:199], v[196:197]
	v_fma_f64 v[198:199], v[52:53], s[16:17], -v[204:205]
	v_fma_f64 v[218:219], v[64:65], s[6:7], -v[216:217]
	v_add_f64 v[196:197], v[198:199], v[196:197]
	v_fma_f64 v[198:199], v[50:51], s[8:9], -v[206:207]
	v_add_f64 v[26:27], v[218:219], v[26:27]
	v_mul_f64 v[218:219], v[84:85], s[30:31]
	v_add_f64 v[196:197], v[198:199], v[196:197]
	v_fma_f64 v[198:199], v[48:49], s[4:5], -v[208:209]
	v_fmac_f64_e32 v[210:211], s[10:11], v[82:83]
	v_fma_f64 v[220:221], v[62:63], s[16:17], -v[218:219]
	v_add_f64 v[196:197], v[198:199], v[196:197]
	v_fmac_f64_e32 v[212:213], s[14:15], v[76:77]
	v_add_f64 v[198:199], v[0:1], v[210:211]
	v_add_f64 v[26:27], v[220:221], v[26:27]
	v_mul_f64 v[220:221], v[72:73], s[34:35]
	v_add_f64 v[198:199], v[212:213], v[198:199]
	v_fmac_f64_e32 v[214:215], s[0:1], v[68:69]
	v_fma_f64 v[222:223], v[60:61], s[8:9], -v[220:221]
	v_add_f64 v[198:199], v[214:215], v[198:199]
	v_fmac_f64_e32 v[216:217], s[6:7], v[64:65]
	v_add_f64 v[26:27], v[222:223], v[26:27]
	v_mul_f64 v[222:223], v[66:67], s[28:29]
	v_add_f64 v[198:199], v[216:217], v[198:199]
	v_fmac_f64_e32 v[218:219], s[16:17], v[62:63]
	v_fma_f64 v[224:225], v[58:59], s[4:5], -v[222:223]
	v_mul_f64 v[226:227], v[42:43], s[36:37]
	v_add_f64 v[198:199], v[218:219], v[198:199]
	v_fmac_f64_e32 v[220:221], s[8:9], v[60:61]
	v_add_f64 v[224:225], v[224:225], v[26:27]
	v_fma_f64 v[26:27], s[12:13], v[40:41], v[226:227]
	v_mul_f64 v[228:229], v[46:47], s[36:37]
	v_add_f64 v[198:199], v[220:221], v[198:199]
	v_fmac_f64_e32 v[222:223], s[4:5], v[58:59]
	v_add_f64 v[26:27], v[26:27], v[24:25]
	v_fma_f64 v[24:25], v[44:45], s[12:13], -v[228:229]
	v_add_f64 v[200:201], v[222:223], v[198:199]
	v_fma_f64 v[198:199], v[40:41], s[12:13], -v[226:227]
	v_fmac_f64_e32 v[228:229], s[12:13], v[44:45]
	v_mul_f64 v[130:131], v[130:131], s[24:25]
	v_add_f64 v[198:199], v[198:199], v[196:197]
	v_add_f64 v[196:197], v[228:229], v[200:201]
	v_mul_f64 v[126:127], v[126:127], s[30:31]
	v_fma_f64 v[200:201], s[8:9], v[56:57], v[130:131]
	v_add_f64 v[200:201], v[2:3], v[200:201]
	v_fma_f64 v[202:203], s[16:17], v[54:55], v[126:127]
	v_add_f64 v[200:201], v[202:203], v[200:201]
	v_mul_f64 v[202:203], v[122:123], s[38:39]
	v_fma_f64 v[122:123], s[10:11], v[38:39], v[202:203]
	v_mul_f64 v[110:111], v[110:111], s[20:21]
	v_add_f64 v[122:123], v[122:123], v[200:201]
	v_fma_f64 v[200:201], s[4:5], v[36:37], v[110:111]
	v_mul_f64 v[98:99], v[98:99], s[22:23]
	v_add_f64 v[122:123], v[200:201], v[122:123]
	;; [unrolled: 3-line block ×5, first 2 shown]
	v_mul_f64 v[200:201], v[120:121], s[30:31]
	v_fma_f64 v[120:121], v[82:83], s[8:9], -v[124:125]
	v_add_f64 v[120:121], v[0:1], v[120:121]
	v_fma_f64 v[204:205], v[76:77], s[16:17], -v[200:201]
	v_mul_f64 v[106:107], v[106:107], s[38:39]
	v_add_f64 v[120:121], v[204:205], v[120:121]
	v_fma_f64 v[204:205], v[68:69], s[10:11], -v[106:107]
	v_mul_f64 v[94:95], v[94:95], s[20:21]
	;; [unrolled: 3-line block ×6, first 2 shown]
	v_add_f64 v[120:121], v[204:205], v[120:121]
	v_fma_f64 v[204:205], s[0:1], v[40:41], v[42:43]
	v_mul_f64 v[46:47], v[46:47], s[18:19]
	v_fma_f64 v[130:131], v[56:57], s[8:9], -v[130:131]
	v_fmac_f64_e32 v[124:125], s[8:9], v[82:83]
	v_add_f64 v[122:123], v[204:205], v[122:123]
	v_fma_f64 v[204:205], v[44:45], s[0:1], -v[46:47]
	v_fma_f64 v[126:127], v[54:55], s[16:17], -v[126:127]
	v_add_f64 v[130:131], v[2:3], v[130:131]
	v_fmac_f64_e32 v[46:47], s[0:1], v[44:45]
	v_fmac_f64_e32 v[200:201], s[16:17], v[76:77]
	v_add_f64 v[44:45], v[0:1], v[124:125]
	v_add_f64 v[126:127], v[126:127], v[130:131]
	v_fma_f64 v[130:131], v[38:39], s[10:11], -v[202:203]
	v_fmac_f64_e32 v[106:107], s[10:11], v[68:69]
	v_add_f64 v[44:45], v[200:201], v[44:45]
	v_add_f64 v[126:127], v[130:131], v[126:127]
	v_fma_f64 v[110:111], v[36:37], s[4:5], -v[110:111]
	;; [unrolled: 4-line block ×5, first 2 shown]
	v_fmac_f64_e32 v[66:67], s[12:13], v[58:59]
	v_add_f64 v[44:45], v[72:73], v[44:45]
	v_add_f64 v[80:81], v[80:81], v[88:89]
	;; [unrolled: 1-line block ×3, first 2 shown]
	v_fma_f64 v[42:43], v[40:41], s[0:1], -v[42:43]
	v_add_f64 v[44:45], v[42:43], v[80:81]
	v_add_f64 v[42:43], v[46:47], v[58:59]
	v_fma_f64 v[58:59], s[6:7], v[56:57], v[164:165]
	v_fma_f64 v[46:47], s[12:13], v[54:55], v[166:167]
	v_add_f64 v[58:59], v[2:3], v[58:59]
	v_add_f64 v[46:47], v[46:47], v[58:59]
	v_fma_f64 v[58:59], s[16:17], v[38:39], v[168:169]
	v_add_f64 v[46:47], v[58:59], v[46:47]
	v_fma_f64 v[58:59], s[10:11], v[36:37], v[170:171]
	;; [unrolled: 2-line block ×6, first 2 shown]
	v_fma_f64 v[62:63], s[0:1], v[56:57], v[132:133]
	v_add_f64 v[60:61], v[60:61], v[46:47]
	v_fma_f64 v[46:47], s[8:9], v[54:55], v[138:139]
	v_add_f64 v[62:63], v[2:3], v[62:63]
	v_add_f64 v[46:47], v[46:47], v[62:63]
	v_fma_f64 v[62:63], s[12:13], v[38:39], v[134:135]
	v_add_f64 v[46:47], v[62:63], v[46:47]
	v_fma_f64 v[62:63], s[16:17], v[36:37], v[136:137]
	;; [unrolled: 2-line block ×8, first 2 shown]
	v_fma_f64 v[48:49], s[12:13], v[50:51], v[96:97]
	v_fma_f64 v[50:51], s[10:11], v[52:53], v[90:91]
	;; [unrolled: 1-line block ×4, first 2 shown]
	v_add_f64 v[2:3], v[52:53], v[2:3]
	v_fma_f64 v[36:37], s[8:9], v[36:37], v[86:87]
	v_add_f64 v[2:3], v[38:39], v[2:3]
	v_add_u32_e32 v32, s2, v32
	v_add_f64 v[2:3], v[36:37], v[2:3]
	v_lshl_add_u64 v[36:37], v[32:33], 4, v[34:35]
	v_add_u32_e32 v32, s2, v32
	global_store_dwordx4 v[36:37], v[42:45], off
	v_lshl_add_u64 v[36:37], v[32:33], 4, v[34:35]
	v_add_u32_e32 v32, s2, v32
	global_store_dwordx4 v[36:37], v[196:199], off
	v_lshl_add_u64 v[36:37], v[32:33], 4, v[34:35]
	v_add_u32_e32 v32, s2, v32
	v_add_f64 v[58:59], v[0:1], v[180:181]
	global_store_dwordx4 v[36:37], v[28:31], off
	v_add_f64 v[58:59], v[178:179], v[58:59]
	v_add_f64 v[62:63], v[0:1], v[148:149]
	v_lshl_add_u64 v[28:29], v[32:33], 4, v[34:35]
	v_add_u32_e32 v32, s2, v32
	global_store_dwordx4 v[28:29], v[16:19], off
	v_add_f64 v[58:59], v[182:183], v[58:59]
	v_add_f64 v[62:63], v[146:147], v[62:63]
	v_lshl_add_u64 v[16:17], v[32:33], 4, v[34:35]
	v_add_u32_e32 v32, s2, v32
	v_add_f64 v[0:1], v[0:1], v[114:115]
	global_store_dwordx4 v[16:17], v[8:11], off
	v_add_f64 v[58:59], v[184:185], v[58:59]
	v_add_f64 v[62:63], v[150:151], v[62:63]
	v_lshl_add_u64 v[8:9], v[32:33], 4, v[34:35]
	v_add_u32_e32 v32, s2, v32
	v_add_f64 v[0:1], v[92:93], v[0:1]
	;; [unrolled: 6-line block ×3, first 2 shown]
	global_store_dwordx4 v[4:5], v[12:15], off
	v_lshl_add_u64 v[4:5], v[32:33], 4, v[34:35]
	v_add_u32_e32 v32, s2, v32
	v_add_f64 v[24:25], v[24:25], v[224:225]
	v_add_f64 v[58:59], v[188:189], v[58:59]
	;; [unrolled: 1-line block ×4, first 2 shown]
	global_store_dwordx4 v[4:5], v[20:23], off
	v_lshl_add_u64 v[4:5], v[32:33], 4, v[34:35]
	v_add_u32_e32 v32, s2, v32
	v_add_f64 v[120:121], v[204:205], v[120:121]
	v_add_f64 v[58:59], v[190:191], v[58:59]
	;; [unrolled: 1-line block ×5, first 2 shown]
	global_store_dwordx4 v[4:5], v[24:27], off
	v_lshl_add_u64 v[4:5], v[32:33], 4, v[34:35]
	v_add_u32_e32 v32, s2, v32
	v_add_f64 v[58:59], v[194:195], v[58:59]
	v_add_f64 v[62:63], v[158:159], v[62:63]
	;; [unrolled: 1-line block ×4, first 2 shown]
	global_store_dwordx4 v[4:5], v[120:123], off
	v_lshl_add_u64 v[4:5], v[32:33], 4, v[34:35]
	v_add_u32_e32 v32, s2, v32
	v_add_f64 v[62:63], v[162:163], v[62:63]
	v_fma_f64 v[40:41], s[16:17], v[40:41], v[128:129]
	v_add_f64 v[2:3], v[46:47], v[2:3]
	v_add_f64 v[0:1], v[116:117], v[0:1]
	global_store_dwordx4 v[4:5], v[58:61], off
	v_lshl_add_u64 v[4:5], v[32:33], 4, v[34:35]
	v_add_u32_e32 v32, s2, v32
	v_add_f64 v[2:3], v[40:41], v[2:3]
	v_add_f64 v[0:1], v[118:119], v[0:1]
	global_store_dwordx4 v[4:5], v[62:65], off
	v_lshl_add_u64 v[4:5], v[32:33], 4, v[34:35]
	global_store_dwordx4 v[4:5], v[0:3], off
.LBB0_8:
	s_endpgm
	.section	.rodata,"a",@progbits
	.p2align	6, 0x0
	.amdhsa_kernel fft_rtc_back_len17_factors_17_wgs_120_tpt_1_dp_op_CI_CI_sbrc_z_xy_unaligned_dirReg
		.amdhsa_group_segment_fixed_size 0
		.amdhsa_private_segment_fixed_size 0
		.amdhsa_kernarg_size 104
		.amdhsa_user_sgpr_count 2
		.amdhsa_user_sgpr_dispatch_ptr 0
		.amdhsa_user_sgpr_queue_ptr 0
		.amdhsa_user_sgpr_kernarg_segment_ptr 1
		.amdhsa_user_sgpr_dispatch_id 0
		.amdhsa_user_sgpr_kernarg_preload_length 0
		.amdhsa_user_sgpr_kernarg_preload_offset 0
		.amdhsa_user_sgpr_private_segment_size 0
		.amdhsa_uses_dynamic_stack 0
		.amdhsa_enable_private_segment 0
		.amdhsa_system_sgpr_workgroup_id_x 1
		.amdhsa_system_sgpr_workgroup_id_y 0
		.amdhsa_system_sgpr_workgroup_id_z 0
		.amdhsa_system_sgpr_workgroup_info 0
		.amdhsa_system_vgpr_workitem_id 0
		.amdhsa_next_free_vgpr 230
		.amdhsa_next_free_sgpr 50
		.amdhsa_accum_offset 232
		.amdhsa_reserve_vcc 1
		.amdhsa_float_round_mode_32 0
		.amdhsa_float_round_mode_16_64 0
		.amdhsa_float_denorm_mode_32 3
		.amdhsa_float_denorm_mode_16_64 3
		.amdhsa_dx10_clamp 1
		.amdhsa_ieee_mode 1
		.amdhsa_fp16_overflow 0
		.amdhsa_tg_split 0
		.amdhsa_exception_fp_ieee_invalid_op 0
		.amdhsa_exception_fp_denorm_src 0
		.amdhsa_exception_fp_ieee_div_zero 0
		.amdhsa_exception_fp_ieee_overflow 0
		.amdhsa_exception_fp_ieee_underflow 0
		.amdhsa_exception_fp_ieee_inexact 0
		.amdhsa_exception_int_div_zero 0
	.end_amdhsa_kernel
	.text
.Lfunc_end0:
	.size	fft_rtc_back_len17_factors_17_wgs_120_tpt_1_dp_op_CI_CI_sbrc_z_xy_unaligned_dirReg, .Lfunc_end0-fft_rtc_back_len17_factors_17_wgs_120_tpt_1_dp_op_CI_CI_sbrc_z_xy_unaligned_dirReg
                                        ; -- End function
	.section	.AMDGPU.csdata,"",@progbits
; Kernel info:
; codeLenInByte = 9296
; NumSgprs: 56
; NumVgprs: 230
; NumAgprs: 0
; TotalNumVgprs: 230
; ScratchSize: 0
; MemoryBound: 0
; FloatMode: 240
; IeeeMode: 1
; LDSByteSize: 0 bytes/workgroup (compile time only)
; SGPRBlocks: 6
; VGPRBlocks: 28
; NumSGPRsForWavesPerEU: 56
; NumVGPRsForWavesPerEU: 230
; AccumOffset: 232
; Occupancy: 2
; WaveLimiterHint : 1
; COMPUTE_PGM_RSRC2:SCRATCH_EN: 0
; COMPUTE_PGM_RSRC2:USER_SGPR: 2
; COMPUTE_PGM_RSRC2:TRAP_HANDLER: 0
; COMPUTE_PGM_RSRC2:TGID_X_EN: 1
; COMPUTE_PGM_RSRC2:TGID_Y_EN: 0
; COMPUTE_PGM_RSRC2:TGID_Z_EN: 0
; COMPUTE_PGM_RSRC2:TIDIG_COMP_CNT: 0
; COMPUTE_PGM_RSRC3_GFX90A:ACCUM_OFFSET: 57
; COMPUTE_PGM_RSRC3_GFX90A:TG_SPLIT: 0
	.text
	.p2alignl 6, 3212836864
	.fill 256, 4, 3212836864
	.type	__hip_cuid_14fb13d66a2af5dc,@object ; @__hip_cuid_14fb13d66a2af5dc
	.section	.bss,"aw",@nobits
	.globl	__hip_cuid_14fb13d66a2af5dc
__hip_cuid_14fb13d66a2af5dc:
	.byte	0                               ; 0x0
	.size	__hip_cuid_14fb13d66a2af5dc, 1

	.ident	"AMD clang version 19.0.0git (https://github.com/RadeonOpenCompute/llvm-project roc-6.4.0 25133 c7fe45cf4b819c5991fe208aaa96edf142730f1d)"
	.section	".note.GNU-stack","",@progbits
	.addrsig
	.addrsig_sym __hip_cuid_14fb13d66a2af5dc
	.amdgpu_metadata
---
amdhsa.kernels:
  - .agpr_count:     0
    .args:
      - .actual_access:  read_only
        .address_space:  global
        .offset:         0
        .size:           8
        .value_kind:     global_buffer
      - .offset:         8
        .size:           8
        .value_kind:     by_value
      - .actual_access:  read_only
        .address_space:  global
        .offset:         16
        .size:           8
        .value_kind:     global_buffer
      - .actual_access:  read_only
        .address_space:  global
        .offset:         24
        .size:           8
        .value_kind:     global_buffer
      - .actual_access:  read_only
        .address_space:  global
        .offset:         32
        .size:           8
        .value_kind:     global_buffer
      - .offset:         40
        .size:           8
        .value_kind:     by_value
      - .actual_access:  read_only
        .address_space:  global
        .offset:         48
        .size:           8
        .value_kind:     global_buffer
      - .actual_access:  read_only
        .address_space:  global
        .offset:         56
        .size:           8
        .value_kind:     global_buffer
      - .offset:         64
        .size:           4
        .value_kind:     by_value
      - .actual_access:  read_only
        .address_space:  global
        .offset:         72
        .size:           8
        .value_kind:     global_buffer
      - .actual_access:  read_only
        .address_space:  global
        .offset:         80
        .size:           8
        .value_kind:     global_buffer
      - .actual_access:  read_only
        .address_space:  global
        .offset:         88
        .size:           8
        .value_kind:     global_buffer
      - .actual_access:  write_only
        .address_space:  global
        .offset:         96
        .size:           8
        .value_kind:     global_buffer
    .group_segment_fixed_size: 0
    .kernarg_segment_align: 8
    .kernarg_segment_size: 104
    .language:       OpenCL C
    .language_version:
      - 2
      - 0
    .max_flat_workgroup_size: 120
    .name:           fft_rtc_back_len17_factors_17_wgs_120_tpt_1_dp_op_CI_CI_sbrc_z_xy_unaligned_dirReg
    .private_segment_fixed_size: 0
    .sgpr_count:     56
    .sgpr_spill_count: 0
    .symbol:         fft_rtc_back_len17_factors_17_wgs_120_tpt_1_dp_op_CI_CI_sbrc_z_xy_unaligned_dirReg.kd
    .uniform_work_group_size: 1
    .uses_dynamic_stack: false
    .vgpr_count:     230
    .vgpr_spill_count: 0
    .wavefront_size: 64
amdhsa.target:   amdgcn-amd-amdhsa--gfx950
amdhsa.version:
  - 1
  - 2
...

	.end_amdgpu_metadata
